;; amdgpu-corpus repo=ROCm/rocm-libraries kind=compiled arch=gfx1250 opt=O3
	.amdgcn_target "amdgcn-amd-amdhsa--gfx1250"
	.amdhsa_code_object_version 6
	.text
	.protected	MIOpenBatchNormFwdInferSpatialEst ; -- Begin function MIOpenBatchNormFwdInferSpatialEst
	.globl	MIOpenBatchNormFwdInferSpatialEst
	.p2align	8
	.type	MIOpenBatchNormFwdInferSpatialEst,@function
MIOpenBatchNormFwdInferSpatialEst:      ; @MIOpenBatchNormFwdInferSpatialEst
; %bb.0:
	s_load_b128 s[12:15], s[0:1], 0x38
	s_bfe_u32 s2, ttmp6, 0x40014
	s_lshr_b32 s4, ttmp7, 16
	s_add_co_i32 s2, s2, 1
	s_bfe_u32 s5, ttmp6, 0x40010
	s_mul_i32 s2, s4, s2
	s_bfe_u32 s3, ttmp6, 0x40008
	s_and_b32 s6, ttmp7, 0xffff
	s_add_co_i32 s5, s5, 1
	s_bfe_u32 s7, ttmp6, 0x4000c
	s_add_co_i32 s2, s3, s2
	s_mul_i32 s3, s6, s5
	s_bfe_u32 s5, ttmp6, 0x40004
	s_add_co_i32 s7, s7, 1
	s_add_co_i32 s5, s5, s3
	s_and_b32 s3, ttmp6, 15
	s_mul_i32 s7, ttmp9, s7
	s_getreg_b32 s8, hwreg(HW_REG_IB_STS2, 6, 4)
	s_add_co_i32 s3, s3, s7
	s_cmp_eq_u32 s8, 0
	s_cselect_b32 s3, ttmp9, s3
	s_cselect_b32 s16, s6, s5
	s_cselect_b32 s2, s4, s2
	s_wait_kmcnt 0x0
	s_cmp_ge_u32 s3, s12
	s_cselect_b32 s4, -1, 0
	s_cmp_ge_u32 s16, s13
	s_cselect_b32 s5, -1, 0
	s_delay_alu instid0(SALU_CYCLE_1) | instskip(SKIP_2) | instid1(SALU_CYCLE_1)
	s_or_b32 s4, s4, s5
	s_cmp_ge_u32 s2, s14
	s_cselect_b32 s5, -1, 0
	s_or_b32 s4, s4, s5
	s_delay_alu instid0(SALU_CYCLE_1)
	s_and_b32 vcc_lo, exec_lo, s4
	s_cbranch_vccnz .LBB0_3
; %bb.1:
	s_clause 0x1
	s_load_b64 s[12:13], s[0:1], 0x30
	s_load_b256 s[4:11], s[0:1], 0x0
	v_mov_b64_e32 v[6:7], 0.5
	s_load_b128 s[20:23], s[0:1], 0x20
	s_wait_kmcnt 0x0
	v_cvt_f32_f64_e32 v0, s[12:13]
	s_load_b32 s10, s[10:11], s3 offset:0x0 scale_offset
	s_wait_kmcnt 0x0
	s_delay_alu instid0(VALU_DEP_1)
	v_add_f32_e32 v0, s10, v0
	s_load_b64 s[18:19], s[0:1], 0x48
	s_load_b32 s10, s[8:9], s3 offset:0x0 scale_offset
	s_load_b32 s11, s[0:1], 0x60
	s_load_b32 s12, s[20:21], s3 offset:0x0 scale_offset
	s_load_b32 s13, s[22:23], s3 offset:0x0 scale_offset
	s_wait_xcnt 0x0
	s_mul_i32 s3, s15, s3
	v_cvt_f64_f32_e64 v[0:1], |v0|
	s_wait_kmcnt 0x0
	s_mul_i32 s0, s18, s16
	s_mul_i32 s1, s2, s19
	s_delay_alu instid0(SALU_CYCLE_1) | instskip(SKIP_2) | instid1(VALU_DEP_1)
	s_add_co_i32 s0, s1, s0
	s_mul_i32 s1, s11, s19
	s_add_co_i32 s0, s0, s3
	v_rsq_f64_e32 v[2:3], v[0:1]
	v_nop
	s_delay_alu instid0(TRANS32_DEP_1) | instskip(SKIP_1) | instid1(VALU_DEP_2)
	v_mul_f64_e64 v[0:1], v[2:3], -v[0:1]
	v_cmp_class_f64_e64 vcc_lo, v[2:3], 0x180
	v_fma_f64 v[0:1], v[0:1], v[2:3], 1.0
	s_delay_alu instid0(VALU_DEP_1) | instskip(SKIP_1) | instid1(VALU_DEP_1)
	v_mul_f64_e32 v[4:5], v[2:3], v[0:1]
	v_fmamk_f64 v[0:1], v[0:1], 0x3fd80000, v[6:7]
	v_fma_f64 v[0:1], v[4:5], v[0:1], v[2:3]
	s_delay_alu instid0(VALU_DEP_1) | instskip(NEXT) | instid1(VALU_DEP_1)
	v_dual_cndmask_b32 v1, v3, v1 :: v_dual_cndmask_b32 v0, v2, v0
	v_cvt_f32_f64_e32 v0, v[0:1]
.LBB0_2:                                ; =>This Inner Loop Header: Depth=1
	s_load_b32 s3, s[4:5], s0 offset:0x0 scale_offset
	s_add_co_i32 s2, s2, s11
	v_mov_b32_e32 v2, s0
	s_wait_xcnt 0x0
	s_add_co_i32 s0, s0, s1
	s_cmp_lt_u32 s2, s14
	s_wait_kmcnt 0x0
	s_sub_f32 s3, s3, s10
	s_delay_alu instid0(VALU_DEP_2) | instid1(SALU_CYCLE_3)
	v_mul_f32_e32 v1, s3, v0
	s_delay_alu instid0(VALU_DEP_1)
	v_fma_f32 v1, s12, v1, s13
	global_store_b32 v2, v1, s[6:7] scale_offset
	s_cbranch_scc1 .LBB0_2
.LBB0_3:
	s_endpgm
	.section	.rodata,"a",@progbits
	.p2align	6, 0x0
	.amdhsa_kernel MIOpenBatchNormFwdInferSpatialEst
		.amdhsa_group_segment_fixed_size 0
		.amdhsa_private_segment_fixed_size 0
		.amdhsa_kernarg_size 344
		.amdhsa_user_sgpr_count 2
		.amdhsa_user_sgpr_dispatch_ptr 0
		.amdhsa_user_sgpr_queue_ptr 0
		.amdhsa_user_sgpr_kernarg_segment_ptr 1
		.amdhsa_user_sgpr_dispatch_id 0
		.amdhsa_user_sgpr_kernarg_preload_length 0
		.amdhsa_user_sgpr_kernarg_preload_offset 0
		.amdhsa_user_sgpr_private_segment_size 0
		.amdhsa_wavefront_size32 1
		.amdhsa_uses_dynamic_stack 0
		.amdhsa_enable_private_segment 0
		.amdhsa_system_sgpr_workgroup_id_x 1
		.amdhsa_system_sgpr_workgroup_id_y 1
		.amdhsa_system_sgpr_workgroup_id_z 1
		.amdhsa_system_sgpr_workgroup_info 0
		.amdhsa_system_vgpr_workitem_id 0
		.amdhsa_next_free_vgpr 8
		.amdhsa_next_free_sgpr 24
		.amdhsa_named_barrier_count 0
		.amdhsa_reserve_vcc 1
		.amdhsa_float_round_mode_32 0
		.amdhsa_float_round_mode_16_64 0
		.amdhsa_float_denorm_mode_32 3
		.amdhsa_float_denorm_mode_16_64 3
		.amdhsa_fp16_overflow 0
		.amdhsa_memory_ordered 1
		.amdhsa_forward_progress 1
		.amdhsa_inst_pref_size 4
		.amdhsa_round_robin_scheduling 0
		.amdhsa_exception_fp_ieee_invalid_op 0
		.amdhsa_exception_fp_denorm_src 0
		.amdhsa_exception_fp_ieee_div_zero 0
		.amdhsa_exception_fp_ieee_overflow 0
		.amdhsa_exception_fp_ieee_underflow 0
		.amdhsa_exception_fp_ieee_inexact 0
		.amdhsa_exception_int_div_zero 0
	.end_amdhsa_kernel
	.text
.Lfunc_end0:
	.size	MIOpenBatchNormFwdInferSpatialEst, .Lfunc_end0-MIOpenBatchNormFwdInferSpatialEst
                                        ; -- End function
	.set MIOpenBatchNormFwdInferSpatialEst.num_vgpr, 8
	.set MIOpenBatchNormFwdInferSpatialEst.num_agpr, 0
	.set MIOpenBatchNormFwdInferSpatialEst.numbered_sgpr, 24
	.set MIOpenBatchNormFwdInferSpatialEst.num_named_barrier, 0
	.set MIOpenBatchNormFwdInferSpatialEst.private_seg_size, 0
	.set MIOpenBatchNormFwdInferSpatialEst.uses_vcc, 1
	.set MIOpenBatchNormFwdInferSpatialEst.uses_flat_scratch, 0
	.set MIOpenBatchNormFwdInferSpatialEst.has_dyn_sized_stack, 0
	.set MIOpenBatchNormFwdInferSpatialEst.has_recursion, 0
	.set MIOpenBatchNormFwdInferSpatialEst.has_indirect_call, 0
	.section	.AMDGPU.csdata,"",@progbits
; Kernel info:
; codeLenInByte = 476
; TotalNumSgprs: 26
; NumVgprs: 8
; ScratchSize: 0
; MemoryBound: 0
; FloatMode: 240
; IeeeMode: 1
; LDSByteSize: 0 bytes/workgroup (compile time only)
; SGPRBlocks: 0
; VGPRBlocks: 0
; NumSGPRsForWavesPerEU: 26
; NumVGPRsForWavesPerEU: 8
; NamedBarCnt: 0
; Occupancy: 16
; WaveLimiterHint : 0
; COMPUTE_PGM_RSRC2:SCRATCH_EN: 0
; COMPUTE_PGM_RSRC2:USER_SGPR: 2
; COMPUTE_PGM_RSRC2:TRAP_HANDLER: 0
; COMPUTE_PGM_RSRC2:TGID_X_EN: 1
; COMPUTE_PGM_RSRC2:TGID_Y_EN: 1
; COMPUTE_PGM_RSRC2:TGID_Z_EN: 1
; COMPUTE_PGM_RSRC2:TIDIG_COMP_CNT: 0
	.text
	.protected	MIOpenBatchNormFwdInferSpatialEstInvVar ; -- Begin function MIOpenBatchNormFwdInferSpatialEstInvVar
	.globl	MIOpenBatchNormFwdInferSpatialEstInvVar
	.p2align	8
	.type	MIOpenBatchNormFwdInferSpatialEstInvVar,@function
MIOpenBatchNormFwdInferSpatialEstInvVar: ; @MIOpenBatchNormFwdInferSpatialEstInvVar
; %bb.0:
	s_load_b128 s[12:15], s[0:1], 0x30
	s_bfe_u32 s2, ttmp6, 0x40014
	s_lshr_b32 s4, ttmp7, 16
	s_add_co_i32 s2, s2, 1
	s_bfe_u32 s5, ttmp6, 0x40010
	s_mul_i32 s2, s4, s2
	s_bfe_u32 s3, ttmp6, 0x40008
	s_and_b32 s6, ttmp7, 0xffff
	s_add_co_i32 s5, s5, 1
	s_bfe_u32 s7, ttmp6, 0x4000c
	s_add_co_i32 s2, s3, s2
	s_mul_i32 s3, s6, s5
	s_bfe_u32 s5, ttmp6, 0x40004
	s_add_co_i32 s7, s7, 1
	s_add_co_i32 s5, s5, s3
	s_and_b32 s3, ttmp6, 15
	s_mul_i32 s7, ttmp9, s7
	s_getreg_b32 s8, hwreg(HW_REG_IB_STS2, 6, 4)
	s_add_co_i32 s3, s3, s7
	s_cmp_eq_u32 s8, 0
	s_cselect_b32 s3, ttmp9, s3
	s_cselect_b32 s16, s6, s5
	s_cselect_b32 s2, s4, s2
	s_wait_kmcnt 0x0
	s_cmp_ge_u32 s3, s12
	s_cselect_b32 s4, -1, 0
	s_cmp_ge_u32 s16, s13
	s_cselect_b32 s5, -1, 0
	s_delay_alu instid0(SALU_CYCLE_1) | instskip(SKIP_2) | instid1(SALU_CYCLE_1)
	s_or_b32 s4, s4, s5
	s_cmp_ge_u32 s2, s14
	s_cselect_b32 s5, -1, 0
	s_or_b32 s4, s4, s5
	s_delay_alu instid0(SALU_CYCLE_1)
	s_and_b32 vcc_lo, exec_lo, s4
	s_cbranch_vccnz .LBB1_3
; %bb.1:
	s_clause 0x3
	s_load_b256 s[4:11], s[0:1], 0x0
	s_load_b128 s[20:23], s[0:1], 0x20
	s_load_b64 s[18:19], s[0:1], 0x40
	s_load_b32 s12, s[0:1], 0x58
	s_wait_kmcnt 0x0
	s_load_b32 s0, s[8:9], s3 offset:0x0 scale_offset
	s_load_b32 s1, s[10:11], s3 offset:0x0 scale_offset
	;; [unrolled: 1-line block ×4, first 2 shown]
	s_wait_xcnt 0x0
	s_mul_i32 s8, s18, s16
	s_mul_i32 s9, s2, s19
	;; [unrolled: 1-line block ×3, first 2 shown]
	s_add_co_i32 s8, s9, s8
	s_delay_alu instid0(SALU_CYCLE_1)
	s_add_co_i32 s3, s8, s3
	s_mul_i32 s8, s12, s19
.LBB1_2:                                ; =>This Inner Loop Header: Depth=1
	s_load_b32 s9, s[4:5], s3 offset:0x0 scale_offset
	s_wait_kmcnt 0x0
	s_mov_b32 s10, s17
	s_add_co_i32 s2, s2, s12
	s_sub_f32 s9, s9, s0
	s_delay_alu instid0(SALU_CYCLE_3) | instskip(NEXT) | instid1(SALU_CYCLE_3)
	s_mul_f32 s9, s1, s9
	s_fmac_f32 s10, s13, s9
	v_mov_b32_e32 v0, s3
	s_wait_xcnt 0x0
	s_add_co_i32 s3, s3, s8
	s_cmp_lt_u32 s2, s14
	v_mov_b32_e32 v1, s10
	global_store_b32 v0, v1, s[6:7] scale_offset
	s_cbranch_scc1 .LBB1_2
.LBB1_3:
	s_endpgm
	.section	.rodata,"a",@progbits
	.p2align	6, 0x0
	.amdhsa_kernel MIOpenBatchNormFwdInferSpatialEstInvVar
		.amdhsa_group_segment_fixed_size 0
		.amdhsa_private_segment_fixed_size 0
		.amdhsa_kernarg_size 336
		.amdhsa_user_sgpr_count 2
		.amdhsa_user_sgpr_dispatch_ptr 0
		.amdhsa_user_sgpr_queue_ptr 0
		.amdhsa_user_sgpr_kernarg_segment_ptr 1
		.amdhsa_user_sgpr_dispatch_id 0
		.amdhsa_user_sgpr_kernarg_preload_length 0
		.amdhsa_user_sgpr_kernarg_preload_offset 0
		.amdhsa_user_sgpr_private_segment_size 0
		.amdhsa_wavefront_size32 1
		.amdhsa_uses_dynamic_stack 0
		.amdhsa_enable_private_segment 0
		.amdhsa_system_sgpr_workgroup_id_x 1
		.amdhsa_system_sgpr_workgroup_id_y 1
		.amdhsa_system_sgpr_workgroup_id_z 1
		.amdhsa_system_sgpr_workgroup_info 0
		.amdhsa_system_vgpr_workitem_id 0
		.amdhsa_next_free_vgpr 2
		.amdhsa_next_free_sgpr 24
		.amdhsa_named_barrier_count 0
		.amdhsa_reserve_vcc 1
		.amdhsa_float_round_mode_32 0
		.amdhsa_float_round_mode_16_64 0
		.amdhsa_float_denorm_mode_32 3
		.amdhsa_float_denorm_mode_16_64 3
		.amdhsa_fp16_overflow 0
		.amdhsa_memory_ordered 1
		.amdhsa_forward_progress 1
		.amdhsa_inst_pref_size 3
		.amdhsa_round_robin_scheduling 0
		.amdhsa_exception_fp_ieee_invalid_op 0
		.amdhsa_exception_fp_denorm_src 0
		.amdhsa_exception_fp_ieee_div_zero 0
		.amdhsa_exception_fp_ieee_overflow 0
		.amdhsa_exception_fp_ieee_underflow 0
		.amdhsa_exception_fp_ieee_inexact 0
		.amdhsa_exception_int_div_zero 0
	.end_amdhsa_kernel
	.text
.Lfunc_end1:
	.size	MIOpenBatchNormFwdInferSpatialEstInvVar, .Lfunc_end1-MIOpenBatchNormFwdInferSpatialEstInvVar
                                        ; -- End function
	.set MIOpenBatchNormFwdInferSpatialEstInvVar.num_vgpr, 2
	.set MIOpenBatchNormFwdInferSpatialEstInvVar.num_agpr, 0
	.set MIOpenBatchNormFwdInferSpatialEstInvVar.numbered_sgpr, 24
	.set MIOpenBatchNormFwdInferSpatialEstInvVar.num_named_barrier, 0
	.set MIOpenBatchNormFwdInferSpatialEstInvVar.private_seg_size, 0
	.set MIOpenBatchNormFwdInferSpatialEstInvVar.uses_vcc, 1
	.set MIOpenBatchNormFwdInferSpatialEstInvVar.uses_flat_scratch, 0
	.set MIOpenBatchNormFwdInferSpatialEstInvVar.has_dyn_sized_stack, 0
	.set MIOpenBatchNormFwdInferSpatialEstInvVar.has_recursion, 0
	.set MIOpenBatchNormFwdInferSpatialEstInvVar.has_indirect_call, 0
	.section	.AMDGPU.csdata,"",@progbits
; Kernel info:
; codeLenInByte = 352
; TotalNumSgprs: 26
; NumVgprs: 2
; ScratchSize: 0
; MemoryBound: 0
; FloatMode: 240
; IeeeMode: 1
; LDSByteSize: 0 bytes/workgroup (compile time only)
; SGPRBlocks: 0
; VGPRBlocks: 0
; NumSGPRsForWavesPerEU: 26
; NumVGPRsForWavesPerEU: 2
; NamedBarCnt: 0
; Occupancy: 16
; WaveLimiterHint : 0
; COMPUTE_PGM_RSRC2:SCRATCH_EN: 0
; COMPUTE_PGM_RSRC2:USER_SGPR: 2
; COMPUTE_PGM_RSRC2:TRAP_HANDLER: 0
; COMPUTE_PGM_RSRC2:TGID_X_EN: 1
; COMPUTE_PGM_RSRC2:TGID_Y_EN: 1
; COMPUTE_PGM_RSRC2:TGID_Z_EN: 1
; COMPUTE_PGM_RSRC2:TIDIG_COMP_CNT: 0
	.text
	.p2alignl 7, 3214868480
	.fill 96, 4, 3214868480
	.section	.AMDGPU.gpr_maximums,"",@progbits
	.set amdgpu.max_num_vgpr, 0
	.set amdgpu.max_num_agpr, 0
	.set amdgpu.max_num_sgpr, 0
	.text
	.type	__hip_cuid_38d5818cfa837fd8,@object ; @__hip_cuid_38d5818cfa837fd8
	.section	.bss,"aw",@nobits
	.globl	__hip_cuid_38d5818cfa837fd8
__hip_cuid_38d5818cfa837fd8:
	.byte	0                               ; 0x0
	.size	__hip_cuid_38d5818cfa837fd8, 1

	.ident	"AMD clang version 22.0.0git (https://github.com/RadeonOpenCompute/llvm-project roc-7.2.4 26084 f58b06dce1f9c15707c5f808fd002e18c2accf7e)"
	.section	".note.GNU-stack","",@progbits
	.addrsig
	.addrsig_sym __hip_cuid_38d5818cfa837fd8
	.amdgpu_metadata
---
amdhsa.kernels:
  - .args:
      - .actual_access:  read_only
        .address_space:  global
        .offset:         0
        .size:           8
        .value_kind:     global_buffer
      - .actual_access:  write_only
        .address_space:  global
        .offset:         8
        .size:           8
        .value_kind:     global_buffer
      - .actual_access:  read_only
        .address_space:  global
        .offset:         16
        .size:           8
        .value_kind:     global_buffer
      - .actual_access:  read_only
        .address_space:  global
        .offset:         24
        .size:           8
        .value_kind:     global_buffer
      - .actual_access:  read_only
        .address_space:  global
        .offset:         32
        .size:           8
        .value_kind:     global_buffer
      - .actual_access:  read_only
        .address_space:  global
        .offset:         40
        .size:           8
        .value_kind:     global_buffer
      - .offset:         48
        .size:           8
        .value_kind:     by_value
      - .offset:         56
        .size:           4
        .value_kind:     by_value
      - .offset:         60
        .size:           4
        .value_kind:     by_value
      - .offset:         64
        .size:           4
        .value_kind:     by_value
      - .offset:         68
        .size:           4
        .value_kind:     by_value
      - .offset:         72
        .size:           4
        .value_kind:     by_value
      - .offset:         76
        .size:           4
        .value_kind:     by_value
      - .offset:         80
        .size:           4
        .value_kind:     by_value
      - .offset:         84
        .size:           4
        .value_kind:     by_value
      - .offset:         88
        .size:           4
        .value_kind:     hidden_block_count_x
      - .offset:         92
        .size:           4
        .value_kind:     hidden_block_count_y
      - .offset:         96
        .size:           4
        .value_kind:     hidden_block_count_z
      - .offset:         100
        .size:           2
        .value_kind:     hidden_group_size_x
      - .offset:         102
        .size:           2
        .value_kind:     hidden_group_size_y
      - .offset:         104
        .size:           2
        .value_kind:     hidden_group_size_z
      - .offset:         106
        .size:           2
        .value_kind:     hidden_remainder_x
      - .offset:         108
        .size:           2
        .value_kind:     hidden_remainder_y
      - .offset:         110
        .size:           2
        .value_kind:     hidden_remainder_z
      - .offset:         128
        .size:           8
        .value_kind:     hidden_global_offset_x
      - .offset:         136
        .size:           8
        .value_kind:     hidden_global_offset_y
      - .offset:         144
        .size:           8
        .value_kind:     hidden_global_offset_z
      - .offset:         152
        .size:           2
        .value_kind:     hidden_grid_dims
    .group_segment_fixed_size: 0
    .kernarg_segment_align: 8
    .kernarg_segment_size: 344
    .language:       OpenCL C
    .language_version:
      - 2
      - 0
    .max_flat_workgroup_size: 1
    .name:           MIOpenBatchNormFwdInferSpatialEst
    .private_segment_fixed_size: 0
    .sgpr_count:     26
    .sgpr_spill_count: 0
    .symbol:         MIOpenBatchNormFwdInferSpatialEst.kd
    .uniform_work_group_size: 1
    .uses_dynamic_stack: false
    .vgpr_count:     8
    .vgpr_spill_count: 0
    .wavefront_size: 32
  - .args:
      - .actual_access:  read_only
        .address_space:  global
        .offset:         0
        .size:           8
        .value_kind:     global_buffer
      - .actual_access:  write_only
        .address_space:  global
        .offset:         8
        .size:           8
        .value_kind:     global_buffer
      - .actual_access:  read_only
        .address_space:  global
        .offset:         16
        .size:           8
        .value_kind:     global_buffer
      - .actual_access:  read_only
        .address_space:  global
        .offset:         24
        .size:           8
        .value_kind:     global_buffer
      - .actual_access:  read_only
        .address_space:  global
        .offset:         32
        .size:           8
        .value_kind:     global_buffer
      - .actual_access:  read_only
        .address_space:  global
        .offset:         40
        .size:           8
        .value_kind:     global_buffer
      - .offset:         48
        .size:           4
        .value_kind:     by_value
      - .offset:         52
        .size:           4
        .value_kind:     by_value
      - .offset:         56
        .size:           4
        .value_kind:     by_value
      - .offset:         60
        .size:           4
        .value_kind:     by_value
      - .offset:         64
        .size:           4
        .value_kind:     by_value
      - .offset:         68
        .size:           4
        .value_kind:     by_value
      - .offset:         72
        .size:           4
        .value_kind:     by_value
      - .offset:         76
        .size:           4
        .value_kind:     by_value
      - .offset:         80
        .size:           4
        .value_kind:     hidden_block_count_x
      - .offset:         84
        .size:           4
        .value_kind:     hidden_block_count_y
      - .offset:         88
        .size:           4
        .value_kind:     hidden_block_count_z
      - .offset:         92
        .size:           2
        .value_kind:     hidden_group_size_x
      - .offset:         94
        .size:           2
        .value_kind:     hidden_group_size_y
      - .offset:         96
        .size:           2
        .value_kind:     hidden_group_size_z
      - .offset:         98
        .size:           2
        .value_kind:     hidden_remainder_x
      - .offset:         100
        .size:           2
        .value_kind:     hidden_remainder_y
      - .offset:         102
        .size:           2
        .value_kind:     hidden_remainder_z
      - .offset:         120
        .size:           8
        .value_kind:     hidden_global_offset_x
      - .offset:         128
        .size:           8
        .value_kind:     hidden_global_offset_y
      - .offset:         136
        .size:           8
        .value_kind:     hidden_global_offset_z
      - .offset:         144
        .size:           2
        .value_kind:     hidden_grid_dims
    .group_segment_fixed_size: 0
    .kernarg_segment_align: 8
    .kernarg_segment_size: 336
    .language:       OpenCL C
    .language_version:
      - 2
      - 0
    .max_flat_workgroup_size: 1
    .name:           MIOpenBatchNormFwdInferSpatialEstInvVar
    .private_segment_fixed_size: 0
    .sgpr_count:     26
    .sgpr_spill_count: 0
    .symbol:         MIOpenBatchNormFwdInferSpatialEstInvVar.kd
    .uniform_work_group_size: 1
    .uses_dynamic_stack: false
    .vgpr_count:     2
    .vgpr_spill_count: 0
    .wavefront_size: 32
amdhsa.target:   amdgcn-amd-amdhsa--gfx1250
amdhsa.version:
  - 1
  - 2
...

	.end_amdgpu_metadata
